;; amdgpu-corpus repo=ROCm/rocFFT kind=compiled arch=gfx1201 opt=O3
	.text
	.amdgcn_target "amdgcn-amd-amdhsa--gfx1201"
	.amdhsa_code_object_version 6
	.protected	fft_rtc_fwd_len462_factors_11_6_7_wgs_231_tpt_77_sp_op_CI_CI_unitstride_sbrr_R2C_dirReg ; -- Begin function fft_rtc_fwd_len462_factors_11_6_7_wgs_231_tpt_77_sp_op_CI_CI_unitstride_sbrr_R2C_dirReg
	.globl	fft_rtc_fwd_len462_factors_11_6_7_wgs_231_tpt_77_sp_op_CI_CI_unitstride_sbrr_R2C_dirReg
	.p2align	8
	.type	fft_rtc_fwd_len462_factors_11_6_7_wgs_231_tpt_77_sp_op_CI_CI_unitstride_sbrr_R2C_dirReg,@function
fft_rtc_fwd_len462_factors_11_6_7_wgs_231_tpt_77_sp_op_CI_CI_unitstride_sbrr_R2C_dirReg: ; @fft_rtc_fwd_len462_factors_11_6_7_wgs_231_tpt_77_sp_op_CI_CI_unitstride_sbrr_R2C_dirReg
; %bb.0:
	s_load_b128 s[8:11], s[0:1], 0x0
	v_mul_u32_u24_e32 v1, 0x354, v0
	s_clause 0x1
	s_load_b128 s[4:7], s[0:1], 0x58
	s_load_b128 s[12:15], s[0:1], 0x18
	v_mov_b32_e32 v5, 0
	v_lshrrev_b32_e32 v3, 16, v1
	v_mov_b32_e32 v1, 0
	v_mov_b32_e32 v2, 0
	s_delay_alu instid0(VALU_DEP_3) | instskip(NEXT) | instid1(VALU_DEP_2)
	v_mad_co_u64_u32 v[3:4], null, ttmp9, 3, v[3:4]
	v_dual_mov_b32 v4, v5 :: v_dual_mov_b32 v21, v2
	s_delay_alu instid0(VALU_DEP_1) | instskip(NEXT) | instid1(VALU_DEP_3)
	v_dual_mov_b32 v20, v1 :: v_dual_mov_b32 v23, v4
	v_mov_b32_e32 v22, v3
	s_wait_kmcnt 0x0
	v_cmp_lt_u64_e64 s2, s[10:11], 2
	s_delay_alu instid0(VALU_DEP_1)
	s_and_b32 vcc_lo, exec_lo, s2
	s_cbranch_vccnz .LBB0_8
; %bb.1:
	s_load_b64 s[2:3], s[0:1], 0x10
	v_dual_mov_b32 v1, 0 :: v_dual_mov_b32 v8, v4
	v_dual_mov_b32 v2, 0 :: v_dual_mov_b32 v7, v3
	s_add_nc_u64 s[16:17], s[14:15], 8
	s_add_nc_u64 s[18:19], s[12:13], 8
	s_mov_b64 s[20:21], 1
	s_delay_alu instid0(VALU_DEP_1)
	v_dual_mov_b32 v21, v2 :: v_dual_mov_b32 v20, v1
	s_wait_kmcnt 0x0
	s_add_nc_u64 s[22:23], s[2:3], 8
	s_mov_b32 s3, 0
.LBB0_2:                                ; =>This Inner Loop Header: Depth=1
	s_load_b64 s[24:25], s[22:23], 0x0
                                        ; implicit-def: $vgpr22_vgpr23
	s_mov_b32 s2, exec_lo
	s_wait_kmcnt 0x0
	v_or_b32_e32 v6, s25, v8
	s_delay_alu instid0(VALU_DEP_1)
	v_cmpx_ne_u64_e32 0, v[5:6]
	s_wait_alu 0xfffe
	s_xor_b32 s26, exec_lo, s2
	s_cbranch_execz .LBB0_4
; %bb.3:                                ;   in Loop: Header=BB0_2 Depth=1
	s_cvt_f32_u32 s2, s24
	s_cvt_f32_u32 s27, s25
	s_sub_nc_u64 s[30:31], 0, s[24:25]
	s_wait_alu 0xfffe
	s_delay_alu instid0(SALU_CYCLE_1) | instskip(SKIP_1) | instid1(SALU_CYCLE_2)
	s_fmamk_f32 s2, s27, 0x4f800000, s2
	s_wait_alu 0xfffe
	v_s_rcp_f32 s2, s2
	s_delay_alu instid0(TRANS32_DEP_1) | instskip(SKIP_1) | instid1(SALU_CYCLE_2)
	s_mul_f32 s2, s2, 0x5f7ffffc
	s_wait_alu 0xfffe
	s_mul_f32 s27, s2, 0x2f800000
	s_wait_alu 0xfffe
	s_delay_alu instid0(SALU_CYCLE_2) | instskip(SKIP_1) | instid1(SALU_CYCLE_2)
	s_trunc_f32 s27, s27
	s_wait_alu 0xfffe
	s_fmamk_f32 s2, s27, 0xcf800000, s2
	s_cvt_u32_f32 s29, s27
	s_wait_alu 0xfffe
	s_delay_alu instid0(SALU_CYCLE_1) | instskip(SKIP_1) | instid1(SALU_CYCLE_2)
	s_cvt_u32_f32 s28, s2
	s_wait_alu 0xfffe
	s_mul_u64 s[34:35], s[30:31], s[28:29]
	s_wait_alu 0xfffe
	s_mul_hi_u32 s37, s28, s35
	s_mul_i32 s36, s28, s35
	s_mul_hi_u32 s2, s28, s34
	s_mul_i32 s33, s29, s34
	s_wait_alu 0xfffe
	s_add_nc_u64 s[36:37], s[2:3], s[36:37]
	s_mul_hi_u32 s27, s29, s34
	s_mul_hi_u32 s38, s29, s35
	s_add_co_u32 s2, s36, s33
	s_wait_alu 0xfffe
	s_add_co_ci_u32 s2, s37, s27
	s_mul_i32 s34, s29, s35
	s_add_co_ci_u32 s35, s38, 0
	s_wait_alu 0xfffe
	s_add_nc_u64 s[34:35], s[2:3], s[34:35]
	s_wait_alu 0xfffe
	v_add_co_u32 v4, s2, s28, s34
	s_delay_alu instid0(VALU_DEP_1) | instskip(SKIP_1) | instid1(VALU_DEP_1)
	s_cmp_lg_u32 s2, 0
	s_add_co_ci_u32 s29, s29, s35
	v_readfirstlane_b32 s28, v4
	s_wait_alu 0xfffe
	s_delay_alu instid0(VALU_DEP_1)
	s_mul_u64 s[30:31], s[30:31], s[28:29]
	s_wait_alu 0xfffe
	s_mul_hi_u32 s35, s28, s31
	s_mul_i32 s34, s28, s31
	s_mul_hi_u32 s2, s28, s30
	s_mul_i32 s33, s29, s30
	s_wait_alu 0xfffe
	s_add_nc_u64 s[34:35], s[2:3], s[34:35]
	s_mul_hi_u32 s27, s29, s30
	s_mul_hi_u32 s28, s29, s31
	s_wait_alu 0xfffe
	s_add_co_u32 s2, s34, s33
	s_add_co_ci_u32 s2, s35, s27
	s_mul_i32 s30, s29, s31
	s_add_co_ci_u32 s31, s28, 0
	s_wait_alu 0xfffe
	s_add_nc_u64 s[30:31], s[2:3], s[30:31]
	s_wait_alu 0xfffe
	v_add_co_u32 v4, s2, v4, s30
	s_delay_alu instid0(VALU_DEP_1) | instskip(SKIP_1) | instid1(VALU_DEP_1)
	s_cmp_lg_u32 s2, 0
	s_add_co_ci_u32 s2, s29, s31
	v_mul_hi_u32 v6, v7, v4
	s_wait_alu 0xfffe
	v_mad_co_u64_u32 v[9:10], null, v7, s2, 0
	v_mad_co_u64_u32 v[11:12], null, v8, v4, 0
	;; [unrolled: 1-line block ×3, first 2 shown]
	s_delay_alu instid0(VALU_DEP_3) | instskip(SKIP_1) | instid1(VALU_DEP_4)
	v_add_co_u32 v4, vcc_lo, v6, v9
	s_wait_alu 0xfffd
	v_add_co_ci_u32_e32 v6, vcc_lo, 0, v10, vcc_lo
	s_delay_alu instid0(VALU_DEP_2) | instskip(SKIP_1) | instid1(VALU_DEP_2)
	v_add_co_u32 v4, vcc_lo, v4, v11
	s_wait_alu 0xfffd
	v_add_co_ci_u32_e32 v4, vcc_lo, v6, v12, vcc_lo
	s_wait_alu 0xfffd
	v_add_co_ci_u32_e32 v6, vcc_lo, 0, v14, vcc_lo
	s_delay_alu instid0(VALU_DEP_2) | instskip(SKIP_1) | instid1(VALU_DEP_2)
	v_add_co_u32 v4, vcc_lo, v4, v13
	s_wait_alu 0xfffd
	v_add_co_ci_u32_e32 v6, vcc_lo, 0, v6, vcc_lo
	s_delay_alu instid0(VALU_DEP_2) | instskip(SKIP_1) | instid1(VALU_DEP_3)
	v_mul_lo_u32 v11, s25, v4
	v_mad_co_u64_u32 v[9:10], null, s24, v4, 0
	v_mul_lo_u32 v12, s24, v6
	s_delay_alu instid0(VALU_DEP_2) | instskip(NEXT) | instid1(VALU_DEP_2)
	v_sub_co_u32 v9, vcc_lo, v7, v9
	v_add3_u32 v10, v10, v12, v11
	s_delay_alu instid0(VALU_DEP_1) | instskip(SKIP_1) | instid1(VALU_DEP_1)
	v_sub_nc_u32_e32 v11, v8, v10
	s_wait_alu 0xfffd
	v_subrev_co_ci_u32_e64 v11, s2, s25, v11, vcc_lo
	v_add_co_u32 v12, s2, v4, 2
	s_wait_alu 0xf1ff
	v_add_co_ci_u32_e64 v13, s2, 0, v6, s2
	v_sub_co_u32 v14, s2, v9, s24
	v_sub_co_ci_u32_e32 v10, vcc_lo, v8, v10, vcc_lo
	s_wait_alu 0xf1ff
	v_subrev_co_ci_u32_e64 v11, s2, 0, v11, s2
	s_delay_alu instid0(VALU_DEP_3) | instskip(NEXT) | instid1(VALU_DEP_3)
	v_cmp_le_u32_e32 vcc_lo, s24, v14
	v_cmp_eq_u32_e64 s2, s25, v10
	s_wait_alu 0xfffd
	v_cndmask_b32_e64 v14, 0, -1, vcc_lo
	v_cmp_le_u32_e32 vcc_lo, s25, v11
	s_wait_alu 0xfffd
	v_cndmask_b32_e64 v15, 0, -1, vcc_lo
	v_cmp_le_u32_e32 vcc_lo, s24, v9
	;; [unrolled: 3-line block ×3, first 2 shown]
	s_wait_alu 0xfffd
	v_cndmask_b32_e64 v16, 0, -1, vcc_lo
	v_cmp_eq_u32_e32 vcc_lo, s25, v11
	s_wait_alu 0xf1ff
	s_delay_alu instid0(VALU_DEP_2)
	v_cndmask_b32_e64 v9, v16, v9, s2
	s_wait_alu 0xfffd
	v_cndmask_b32_e32 v11, v15, v14, vcc_lo
	v_add_co_u32 v14, vcc_lo, v4, 1
	s_wait_alu 0xfffd
	v_add_co_ci_u32_e32 v15, vcc_lo, 0, v6, vcc_lo
	s_delay_alu instid0(VALU_DEP_3) | instskip(SKIP_1) | instid1(VALU_DEP_2)
	v_cmp_ne_u32_e32 vcc_lo, 0, v11
	s_wait_alu 0xfffd
	v_dual_cndmask_b32 v10, v15, v13 :: v_dual_cndmask_b32 v11, v14, v12
	v_cmp_ne_u32_e32 vcc_lo, 0, v9
	s_wait_alu 0xfffd
	s_delay_alu instid0(VALU_DEP_2)
	v_dual_cndmask_b32 v23, v6, v10 :: v_dual_cndmask_b32 v22, v4, v11
.LBB0_4:                                ;   in Loop: Header=BB0_2 Depth=1
	s_wait_alu 0xfffe
	s_and_not1_saveexec_b32 s2, s26
	s_cbranch_execz .LBB0_6
; %bb.5:                                ;   in Loop: Header=BB0_2 Depth=1
	v_cvt_f32_u32_e32 v4, s24
	s_sub_co_i32 s26, 0, s24
	v_mov_b32_e32 v23, v5
	s_delay_alu instid0(VALU_DEP_2) | instskip(NEXT) | instid1(TRANS32_DEP_1)
	v_rcp_iflag_f32_e32 v4, v4
	v_mul_f32_e32 v4, 0x4f7ffffe, v4
	s_delay_alu instid0(VALU_DEP_1) | instskip(SKIP_1) | instid1(VALU_DEP_1)
	v_cvt_u32_f32_e32 v4, v4
	s_wait_alu 0xfffe
	v_mul_lo_u32 v6, s26, v4
	s_delay_alu instid0(VALU_DEP_1) | instskip(NEXT) | instid1(VALU_DEP_1)
	v_mul_hi_u32 v6, v4, v6
	v_add_nc_u32_e32 v4, v4, v6
	s_delay_alu instid0(VALU_DEP_1) | instskip(NEXT) | instid1(VALU_DEP_1)
	v_mul_hi_u32 v4, v7, v4
	v_mul_lo_u32 v6, v4, s24
	s_delay_alu instid0(VALU_DEP_1) | instskip(NEXT) | instid1(VALU_DEP_1)
	v_sub_nc_u32_e32 v6, v7, v6
	v_subrev_nc_u32_e32 v10, s24, v6
	v_cmp_le_u32_e32 vcc_lo, s24, v6
	s_wait_alu 0xfffd
	s_delay_alu instid0(VALU_DEP_2) | instskip(NEXT) | instid1(VALU_DEP_1)
	v_dual_cndmask_b32 v6, v6, v10 :: v_dual_add_nc_u32 v9, 1, v4
	v_cndmask_b32_e32 v4, v4, v9, vcc_lo
	s_delay_alu instid0(VALU_DEP_2) | instskip(NEXT) | instid1(VALU_DEP_2)
	v_cmp_le_u32_e32 vcc_lo, s24, v6
	v_add_nc_u32_e32 v9, 1, v4
	s_wait_alu 0xfffd
	s_delay_alu instid0(VALU_DEP_1)
	v_cndmask_b32_e32 v22, v4, v9, vcc_lo
.LBB0_6:                                ;   in Loop: Header=BB0_2 Depth=1
	s_wait_alu 0xfffe
	s_or_b32 exec_lo, exec_lo, s2
	v_mul_lo_u32 v4, v23, s24
	s_delay_alu instid0(VALU_DEP_2)
	v_mul_lo_u32 v6, v22, s25
	s_load_b64 s[26:27], s[18:19], 0x0
	v_mad_co_u64_u32 v[9:10], null, v22, s24, 0
	s_load_b64 s[24:25], s[16:17], 0x0
	s_add_nc_u64 s[20:21], s[20:21], 1
	s_add_nc_u64 s[16:17], s[16:17], 8
	s_wait_alu 0xfffe
	v_cmp_ge_u64_e64 s2, s[20:21], s[10:11]
	s_add_nc_u64 s[18:19], s[18:19], 8
	s_add_nc_u64 s[22:23], s[22:23], 8
	v_add3_u32 v4, v10, v6, v4
	v_sub_co_u32 v6, vcc_lo, v7, v9
	s_wait_alu 0xfffd
	s_delay_alu instid0(VALU_DEP_2) | instskip(SKIP_2) | instid1(VALU_DEP_1)
	v_sub_co_ci_u32_e32 v4, vcc_lo, v8, v4, vcc_lo
	s_and_b32 vcc_lo, exec_lo, s2
	s_wait_kmcnt 0x0
	v_mul_lo_u32 v7, s26, v4
	v_mul_lo_u32 v8, s27, v6
	v_mad_co_u64_u32 v[1:2], null, s26, v6, v[1:2]
	v_mul_lo_u32 v4, s24, v4
	v_mul_lo_u32 v9, s25, v6
	v_mad_co_u64_u32 v[20:21], null, s24, v6, v[20:21]
	s_delay_alu instid0(VALU_DEP_4) | instskip(NEXT) | instid1(VALU_DEP_2)
	v_add3_u32 v2, v8, v2, v7
	v_add3_u32 v21, v9, v21, v4
	s_wait_alu 0xfffe
	s_cbranch_vccnz .LBB0_8
; %bb.7:                                ;   in Loop: Header=BB0_2 Depth=1
	v_dual_mov_b32 v7, v22 :: v_dual_mov_b32 v8, v23
	s_branch .LBB0_2
.LBB0_8:
	s_load_b64 s[0:1], s[0:1], 0x28
	v_mul_hi_u32 v4, 0xaaaaaaab, v3
                                        ; implicit-def: $vgpr24
	s_delay_alu instid0(VALU_DEP_1) | instskip(NEXT) | instid1(VALU_DEP_1)
	v_lshrrev_b32_e32 v4, 1, v4
	v_lshl_add_u32 v5, v4, 1, v4
	v_mul_hi_u32 v4, 0x3531ded, v0
	s_delay_alu instid0(VALU_DEP_2) | instskip(SKIP_3) | instid1(VALU_DEP_1)
	v_sub_nc_u32_e32 v3, v3, v5
	s_wait_kmcnt 0x0
	v_cmp_gt_u64_e32 vcc_lo, s[0:1], v[22:23]
	v_cmp_le_u64_e64 s0, s[0:1], v[22:23]
	s_and_saveexec_b32 s1, s0
	s_wait_alu 0xfffe
	s_xor_b32 s0, exec_lo, s1
; %bb.9:
	v_mul_u32_u24_e32 v1, 0x4d, v4
                                        ; implicit-def: $vgpr4
	s_delay_alu instid0(VALU_DEP_1)
	v_sub_nc_u32_e32 v24, v0, v1
                                        ; implicit-def: $vgpr0
                                        ; implicit-def: $vgpr1_vgpr2
; %bb.10:
	s_wait_alu 0xfffe
	s_or_saveexec_b32 s1, s0
	v_mul_u32_u24_e32 v3, 0x1cf, v3
	s_lshl_b64 s[2:3], s[10:11], 3
	s_delay_alu instid0(VALU_DEP_1)
	v_lshlrev_b32_e32 v33, 3, v3
	s_wait_alu 0xfffe
	s_xor_b32 exec_lo, exec_lo, s1
	s_cbranch_execz .LBB0_12
; %bb.11:
	s_add_nc_u64 s[10:11], s[12:13], s[2:3]
	v_lshlrev_b64_e32 v[1:2], 3, v[1:2]
	s_load_b64 s[10:11], s[10:11], 0x0
	s_wait_kmcnt 0x0
	v_mul_lo_u32 v3, s11, v22
	v_mul_lo_u32 v7, s10, v23
	v_mad_co_u64_u32 v[5:6], null, s10, v22, 0
	s_delay_alu instid0(VALU_DEP_1) | instskip(SKIP_1) | instid1(VALU_DEP_2)
	v_add3_u32 v6, v6, v7, v3
	v_mul_u32_u24_e32 v7, 0x4d, v4
	v_lshlrev_b64_e32 v[3:4], 3, v[5:6]
	s_delay_alu instid0(VALU_DEP_2) | instskip(NEXT) | instid1(VALU_DEP_1)
	v_sub_nc_u32_e32 v24, v0, v7
	v_lshlrev_b32_e32 v12, 3, v24
	s_delay_alu instid0(VALU_DEP_3) | instskip(SKIP_1) | instid1(VALU_DEP_4)
	v_add_co_u32 v0, s0, s4, v3
	s_wait_alu 0xf1ff
	v_add_co_ci_u32_e64 v3, s0, s5, v4, s0
	s_delay_alu instid0(VALU_DEP_2) | instskip(SKIP_1) | instid1(VALU_DEP_2)
	v_add_co_u32 v0, s0, v0, v1
	s_wait_alu 0xf1ff
	v_add_co_ci_u32_e64 v1, s0, v3, v2, s0
	s_delay_alu instid0(VALU_DEP_2) | instskip(SKIP_1) | instid1(VALU_DEP_2)
	v_add_co_u32 v0, s0, v0, v12
	s_wait_alu 0xf1ff
	v_add_co_ci_u32_e64 v1, s0, 0, v1, s0
	s_clause 0x5
	global_load_b64 v[2:3], v[0:1], off
	global_load_b64 v[4:5], v[0:1], off offset:616
	global_load_b64 v[6:7], v[0:1], off offset:1232
	global_load_b64 v[8:9], v[0:1], off offset:1848
	global_load_b64 v[10:11], v[0:1], off offset:2464
	global_load_b64 v[0:1], v[0:1], off offset:3080
	v_add3_u32 v12, 0, v33, v12
	s_delay_alu instid0(VALU_DEP_1)
	v_add_nc_u32_e32 v13, 0x800, v12
	s_wait_loadcnt 0x4
	ds_store_2addr_b64 v12, v[2:3], v[4:5] offset1:77
	s_wait_loadcnt 0x2
	ds_store_2addr_b64 v12, v[6:7], v[8:9] offset0:154 offset1:231
	s_wait_loadcnt 0x0
	ds_store_2addr_b64 v13, v[10:11], v[0:1] offset0:52 offset1:129
.LBB0_12:
	s_or_b32 exec_lo, exec_lo, s1
	v_lshlrev_b32_e32 v31, 3, v24
	global_wb scope:SCOPE_SE
	s_wait_dscnt 0x0
	s_barrier_signal -1
	s_barrier_wait -1
	global_inv scope:SCOPE_SE
	v_add_nc_u32_e32 v34, 0, v31
	s_add_nc_u64 s[2:3], s[14:15], s[2:3]
	s_mov_b32 s1, exec_lo
	s_delay_alu instid0(VALU_DEP_1) | instskip(NEXT) | instid1(VALU_DEP_1)
	v_add_nc_u32_e32 v32, v34, v33
	v_add_nc_u32_e32 v4, 0x800, v32
	ds_load_2addr_b64 v[8:11], v32 offset0:210 offset1:252
	ds_load_2addr_b64 v[16:19], v32 offset0:42 offset1:84
	;; [unrolled: 1-line block ×3, first 2 shown]
	s_wait_dscnt 0x2
	v_dual_sub_f32 v46, v8, v10 :: v_dual_add_nc_u32 v29, 0, v33
	v_sub_f32_e32 v45, v9, v11
	s_wait_dscnt 0x0
	v_add_f32_e32 v43, v1, v19
	ds_load_2addr_b64 v[12:15], v32 offset0:126 offset1:168
	ds_load_2addr_b64 v[4:7], v4 offset0:38 offset1:80
	v_add_f32_e32 v36, v11, v9
	v_dual_sub_f32 v53, v18, v0 :: v_dual_add_nc_u32 v30, v29, v31
	v_sub_f32_e32 v50, v17, v3
	v_dual_add_f32 v42, v2, v16 :: v_dual_sub_f32 v49, v19, v1
	ds_load_b64 v[27:28], v30
	v_sub_f32_e32 v54, v16, v2
	v_add_f32_e32 v40, v0, v18
	v_add_f32_e32 v44, v3, v17
	v_dual_mul_f32 v58, 0x3f0a6770, v49 :: v_dual_add_f32 v35, v10, v8
	global_wb scope:SCOPE_SE
	s_wait_dscnt 0x0
	s_barrier_signal -1
	s_barrier_wait -1
	global_inv scope:SCOPE_SE
	v_mul_f32_e32 v63, 0x3f0a6770, v53
	v_mul_f32_e32 v55, 0xbf7d64f0, v45
	v_dual_add_f32 v37, v4, v14 :: v_dual_sub_f32 v48, v13, v7
	v_dual_sub_f32 v51, v14, v4 :: v_dual_mul_f32 v60, 0xbe903f40, v50
	s_delay_alu instid0(VALU_DEP_4)
	v_fma_f32 v65, 0x3f575c64, v43, -v63
	v_add_f32_e32 v41, v7, v13
	v_add_f32_e32 v39, v5, v15
	v_fmamk_f32 v59, v40, 0x3f575c64, v58
	v_fmamk_f32 v25, v42, 0xbf75a155, v60
	v_dual_add_f32 v38, v6, v12 :: v_dual_sub_f32 v47, v15, v5
	s_delay_alu instid0(VALU_DEP_2) | instskip(NEXT) | instid1(VALU_DEP_1)
	v_dual_sub_f32 v52, v12, v6 :: v_dual_add_f32 v25, v27, v25
	v_dual_mul_f32 v64, 0xbe903f40, v54 :: v_dual_add_f32 v25, v59, v25
	s_delay_alu instid0(VALU_DEP_1) | instskip(SKIP_2) | instid1(VALU_DEP_3)
	v_fma_f32 v26, 0xbf75a155, v44, -v64
	v_mul_f32_e32 v57, 0xbf4178ce, v48
	v_mul_f32_e32 v59, 0xbf7d64f0, v46
	v_add_f32_e32 v26, v28, v26
	s_delay_alu instid0(VALU_DEP_3) | instskip(SKIP_1) | instid1(VALU_DEP_2)
	v_fmamk_f32 v66, v38, 0xbf27a4f4, v57
	v_mul_f32_e32 v62, 0xbf4178ce, v52
	v_dual_add_f32 v26, v65, v26 :: v_dual_add_f32 v25, v66, v25
	s_delay_alu instid0(VALU_DEP_2) | instskip(SKIP_2) | instid1(VALU_DEP_3)
	v_fma_f32 v67, 0xbf27a4f4, v41, -v62
	v_mul_f32_e32 v56, 0x3f68dda4, v47
	v_fmamk_f32 v66, v35, 0xbe11bafb, v55
	v_dual_add_f32 v26, v67, v26 :: v_dual_mul_f32 v61, 0x3f68dda4, v51
	v_fma_f32 v67, 0xbe11bafb, v36, -v59
	s_delay_alu instid0(VALU_DEP_2) | instskip(NEXT) | instid1(VALU_DEP_1)
	v_fma_f32 v68, 0x3ed4b147, v39, -v61
	v_dual_add_f32 v26, v68, v26 :: v_dual_fmamk_f32 v65, v37, 0x3ed4b147, v56
	s_delay_alu instid0(VALU_DEP_1) | instskip(NEXT) | instid1(VALU_DEP_1)
	v_dual_add_f32 v26, v67, v26 :: v_dual_add_f32 v25, v65, v25
	v_add_f32_e32 v25, v66, v25
	v_cmpx_gt_u32_e32 42, v24
	s_cbranch_execz .LBB0_14
; %bb.13:
	v_dual_mul_f32 v65, 0xbf75a155, v44 :: v_dual_mul_f32 v66, 0xbf75a155, v42
	v_dual_mul_f32 v67, 0x3f575c64, v40 :: v_dual_mul_f32 v68, 0x3f575c64, v43
	s_delay_alu instid0(VALU_DEP_2) | instskip(SKIP_2) | instid1(VALU_DEP_4)
	v_dual_mul_f32 v69, 0xbf27a4f4, v38 :: v_dual_add_f32 v64, v64, v65
	v_mul_f32_e32 v65, 0xbf27a4f4, v41
	v_dual_mul_f32 v70, 0x3ed4b147, v37 :: v_dual_mul_f32 v71, 0x3ed4b147, v39
	v_dual_add_f32 v63, v63, v68 :: v_dual_mul_f32 v68, 0xbe11bafb, v35
	s_delay_alu instid0(VALU_DEP_4) | instskip(NEXT) | instid1(VALU_DEP_4)
	v_add_f32_e32 v64, v28, v64
	v_add_f32_e32 v62, v62, v65
	v_sub_f32_e32 v60, v66, v60
	v_dual_mul_f32 v72, 0xbe11bafb, v36 :: v_dual_add_f32 v61, v61, v71
	s_delay_alu instid0(VALU_DEP_4) | instskip(SKIP_1) | instid1(VALU_DEP_2)
	v_dual_add_f32 v63, v63, v64 :: v_dual_mul_f32 v64, 0xbf4178ce, v54
	v_dual_sub_f32 v57, v69, v57 :: v_dual_sub_f32 v58, v67, v58
	v_dual_add_f32 v59, v59, v72 :: v_dual_add_f32 v62, v62, v63
	v_mul_f32_e32 v63, 0x3f7d64f0, v53
	s_delay_alu instid0(VALU_DEP_4) | instskip(SKIP_2) | instid1(VALU_DEP_3)
	v_dual_fmamk_f32 v65, v44, 0xbf27a4f4, v64 :: v_dual_add_f32 v60, v27, v60
	v_dual_mul_f32 v73, 0x3f68dda4, v52 :: v_dual_mul_f32 v74, 0x3f68dda4, v45
	v_mul_f32_e32 v78, 0x3e903f40, v49
	v_dual_mul_f32 v83, 0xbf0a6770, v47 :: v_dual_add_f32 v58, v58, v60
	s_delay_alu instid0(VALU_DEP_4) | instskip(SKIP_1) | instid1(VALU_DEP_3)
	v_dual_add_f32 v60, v61, v62 :: v_dual_add_f32 v61, v28, v65
	v_mul_f32_e32 v65, 0xbf0a6770, v52
	v_dual_fmamk_f32 v62, v43, 0xbe11bafb, v63 :: v_dual_add_f32 v57, v57, v58
	v_dual_sub_f32 v58, v70, v56 :: v_dual_sub_f32 v55, v68, v55
	s_delay_alu instid0(VALU_DEP_2) | instskip(NEXT) | instid1(VALU_DEP_2)
	v_dual_add_f32 v56, v59, v60 :: v_dual_add_f32 v59, v62, v61
	v_dual_fmamk_f32 v60, v41, 0x3f575c64, v65 :: v_dual_add_f32 v57, v58, v57
	v_mul_f32_e32 v61, 0xbe903f40, v51
	v_mul_f32_e32 v62, 0xbf4178ce, v50
	v_fma_f32 v81, 0xbf75a155, v40, -v78
	s_delay_alu instid0(VALU_DEP_4) | instskip(NEXT) | instid1(VALU_DEP_4)
	v_dual_add_f32 v58, v60, v59 :: v_dual_add_f32 v55, v55, v57
	v_fmamk_f32 v59, v39, 0xbf75a155, v61
	s_delay_alu instid0(VALU_DEP_4) | instskip(SKIP_2) | instid1(VALU_DEP_4)
	v_fma_f32 v57, 0xbf27a4f4, v42, -v62
	v_mul_f32_e32 v66, 0x3f68dda4, v46
	v_mul_f32_e32 v67, 0x3f7d64f0, v49
	v_dual_mul_f32 v71, 0xbe903f40, v47 :: v_dual_add_f32 v58, v59, v58
	s_delay_alu instid0(VALU_DEP_4) | instskip(NEXT) | instid1(VALU_DEP_4)
	v_add_f32_e32 v57, v27, v57
	v_fmamk_f32 v59, v36, 0x3ed4b147, v66
	s_delay_alu instid0(VALU_DEP_4) | instskip(SKIP_3) | instid1(VALU_DEP_4)
	v_fma_f32 v60, 0xbe11bafb, v40, -v67
	v_mul_f32_e32 v69, 0xbf0a6770, v48
	v_mul_f32_e32 v68, 0xbf7d64f0, v54
	;; [unrolled: 1-line block ×3, first 2 shown]
	v_dual_add_f32 v58, v59, v58 :: v_dual_add_f32 v57, v60, v57
	s_delay_alu instid0(VALU_DEP_4) | instskip(SKIP_3) | instid1(VALU_DEP_4)
	v_fma_f32 v60, 0x3f575c64, v38, -v69
	v_mul_f32_e32 v82, 0x3f68dda4, v48
	v_mul_f32_e32 v86, 0xbf4178ce, v45
	v_dual_add_f32 v16, v27, v16 :: v_dual_add_f32 v17, v28, v17
	v_add_f32_e32 v57, v60, v57
	v_fma_f32 v60, 0xbf75a155, v37, -v71
	v_mul_f32_e32 v90, 0x3f0a6770, v46
	s_delay_alu instid0(VALU_DEP_4) | instskip(SKIP_1) | instid1(VALU_DEP_4)
	v_dual_add_f32 v18, v16, v18 :: v_dual_add_f32 v17, v17, v19
	v_mul_f32_e32 v19, 0xbf0a6770, v54
	v_add_f32_e32 v57, v60, v57
	v_fma_f32 v60, 0x3ed4b147, v35, -v74
	s_delay_alu instid0(VALU_DEP_4) | instskip(SKIP_1) | instid1(VALU_DEP_3)
	v_dual_fmamk_f32 v16, v36, 0x3f575c64, v90 :: v_dual_add_f32 v13, v17, v13
	v_dual_add_f32 v12, v18, v12 :: v_dual_mul_f32 v17, 0xbf68dda4, v53
	v_add_f32_e32 v57, v60, v57
	v_fma_f32 v60, 0xbe11bafb, v42, -v76
	v_fmamk_f32 v59, v44, 0xbe11bafb, v68
	s_delay_alu instid0(VALU_DEP_4) | instskip(SKIP_1) | instid1(VALU_DEP_4)
	v_dual_add_f32 v12, v12, v14 :: v_dual_add_f32 v13, v13, v15
	v_fmac_f32_e32 v67, 0xbe11bafb, v40
	v_add_f32_e32 v80, v27, v60
	s_delay_alu instid0(VALU_DEP_4) | instskip(NEXT) | instid1(VALU_DEP_4)
	v_dual_mul_f32 v70, 0x3e903f40, v53 :: v_dual_add_f32 v59, v28, v59
	v_dual_add_f32 v13, v13, v9 :: v_dual_fmac_f32 v76, 0xbe11bafb, v42
	s_delay_alu instid0(VALU_DEP_3) | instskip(NEXT) | instid1(VALU_DEP_3)
	v_add_f32_e32 v80, v81, v80
	v_fmamk_f32 v72, v43, 0xbf75a155, v70
	v_fma_f32 v81, 0x3ed4b147, v38, -v82
	v_mul_f32_e32 v75, 0xbf0a6770, v51
	v_dual_add_f32 v11, v13, v11 :: v_dual_fmac_f32 v82, 0x3ed4b147, v38
	s_delay_alu instid0(VALU_DEP_3) | instskip(SKIP_4) | instid1(VALU_DEP_4)
	v_dual_add_f32 v80, v81, v80 :: v_dual_add_f32 v59, v72, v59
	v_fmamk_f32 v72, v41, 0x3ed4b147, v73
	v_fma_f32 v81, 0x3f575c64, v37, -v83
	v_mul_f32_e32 v79, 0xbf68dda4, v54
	v_dual_add_f32 v5, v11, v5 :: v_dual_add_f32 v8, v12, v8
	v_dual_add_f32 v59, v72, v59 :: v_dual_fmamk_f32 v72, v39, 0x3f575c64, v75
	s_delay_alu instid0(VALU_DEP_4) | instskip(SKIP_1) | instid1(VALU_DEP_4)
	v_add_f32_e32 v80, v81, v80
	v_fma_f32 v81, 0xbf27a4f4, v35, -v86
	v_dual_add_f32 v5, v5, v7 :: v_dual_fmac_f32 v62, 0xbf27a4f4, v42
	s_delay_alu instid0(VALU_DEP_4) | instskip(SKIP_2) | instid1(VALU_DEP_2)
	v_add_f32_e32 v59, v72, v59
	v_mul_f32_e32 v77, 0xbf4178ce, v46
	v_dual_fmac_f32 v71, 0xbf75a155, v37 :: v_dual_fmac_f32 v78, 0xbf75a155, v40
	v_dual_add_f32 v1, v5, v1 :: v_dual_fmamk_f32 v72, v36, 0xbf27a4f4, v77
	s_delay_alu instid0(VALU_DEP_1) | instskip(NEXT) | instid1(VALU_DEP_2)
	v_add_f32_e32 v1, v1, v3
	v_add_f32_e32 v60, v72, v59
	v_fmamk_f32 v59, v44, 0x3ed4b147, v79
	s_delay_alu instid0(VALU_DEP_1) | instskip(NEXT) | instid1(VALU_DEP_1)
	v_dual_mul_f32 v72, 0xbf4178ce, v53 :: v_dual_add_f32 v59, v28, v59
	v_fmamk_f32 v84, v43, 0xbf27a4f4, v72
	s_delay_alu instid0(VALU_DEP_1) | instskip(SKIP_2) | instid1(VALU_DEP_2)
	v_add_f32_e32 v59, v84, v59
	v_mul_f32_e32 v85, 0x3e903f40, v52
	v_fmac_f32_e32 v86, 0xbf27a4f4, v35
	v_fmamk_f32 v84, v41, 0xbf75a155, v85
	s_delay_alu instid0(VALU_DEP_1) | instskip(SKIP_2) | instid1(VALU_DEP_2)
	v_add_f32_e32 v84, v84, v59
	v_dual_mul_f32 v88, 0xbf68dda4, v50 :: v_dual_add_f32 v59, v81, v80
	v_mul_f32_e32 v50, 0xbf0a6770, v50
	v_fma_f32 v80, 0x3ed4b147, v42, -v88
	s_delay_alu instid0(VALU_DEP_1) | instskip(NEXT) | instid1(VALU_DEP_1)
	v_dual_mul_f32 v87, 0x3f7d64f0, v51 :: v_dual_add_f32 v54, v27, v80
	v_fmamk_f32 v89, v39, 0xbe11bafb, v87
	s_delay_alu instid0(VALU_DEP_1) | instskip(SKIP_2) | instid1(VALU_DEP_3)
	v_dual_add_f32 v81, v89, v84 :: v_dual_mul_f32 v84, 0xbf4178ce, v49
	v_mul_f32_e32 v49, 0xbf68dda4, v49
	v_fmac_f32_e32 v88, 0x3ed4b147, v42
	v_add_f32_e32 v16, v16, v81
	s_delay_alu instid0(VALU_DEP_4) | instskip(SKIP_3) | instid1(VALU_DEP_4)
	v_fma_f32 v80, 0xbf27a4f4, v40, -v84
	v_mul_f32_e32 v89, 0x3e903f40, v48
	v_mul_f32_e32 v48, 0xbf7d64f0, v48
	v_fmac_f32_e32 v84, 0xbf27a4f4, v40
	v_add_f32_e32 v18, v80, v54
	s_delay_alu instid0(VALU_DEP_4) | instskip(SKIP_2) | instid1(VALU_DEP_3)
	v_fma_f32 v53, 0xbf75a155, v38, -v89
	v_fmamk_f32 v81, v44, 0x3f575c64, v19
	v_mul_f32_e32 v80, 0x3f0a6770, v45
	v_dual_mul_f32 v45, 0xbe903f40, v45 :: v_dual_add_f32 v18, v53, v18
	s_delay_alu instid0(VALU_DEP_3) | instskip(SKIP_3) | instid1(VALU_DEP_4)
	v_dual_mul_f32 v14, 0x3f7d64f0, v47 :: v_dual_add_f32 v15, v28, v81
	v_fma_f32 v81, 0x3f575c64, v42, -v50
	v_mul_f32_e32 v47, 0xbf4178ce, v47
	v_fmac_f32_e32 v50, 0x3f575c64, v42
	v_fma_f32 v53, 0xbe11bafb, v37, -v14
	v_mul_f32_e32 v51, 0xbf4178ce, v51
	s_delay_alu instid0(VALU_DEP_4) | instskip(SKIP_1) | instid1(VALU_DEP_4)
	v_fma_f32 v13, 0xbf27a4f4, v37, -v47
	v_add_f32_e32 v8, v8, v10
	v_add_f32_e32 v18, v53, v18
	v_fma_f32 v53, 0x3f575c64, v35, -v80
	v_fmamk_f32 v54, v43, 0x3ed4b147, v17
	v_mul_f32_e32 v52, 0xbf7d64f0, v52
	v_fma_f32 v10, 0xbf27a4f4, v44, -v64
	v_fmac_f32_e32 v47, 0xbf27a4f4, v37
	s_delay_alu instid0(VALU_DEP_3) | instskip(NEXT) | instid1(VALU_DEP_3)
	v_dual_add_f32 v15, v54, v15 :: v_dual_fmamk_f32 v54, v41, 0xbe11bafb, v52
	v_add_f32_e32 v7, v28, v10
	v_fma_f32 v10, 0xbe11bafb, v43, -v63
	s_delay_alu instid0(VALU_DEP_3)
	v_dual_add_f32 v54, v54, v15 :: v_dual_add_f32 v15, v53, v18
	v_mul_f32_e32 v18, 0xbe903f40, v46
	v_add_f32_e32 v46, v27, v81
	v_fma_f32 v53, 0x3ed4b147, v40, -v49
	v_add_f32_e32 v5, v10, v7
	v_add_f32_e32 v7, v27, v62
	v_fmamk_f32 v81, v36, 0xbf75a155, v18
	s_delay_alu instid0(VALU_DEP_4) | instskip(SKIP_2) | instid1(VALU_DEP_3)
	v_dual_fmamk_f32 v91, v39, 0xbf27a4f4, v51 :: v_dual_add_f32 v46, v53, v46
	v_fma_f32 v53, 0xbe11bafb, v38, -v48
	v_fma_f32 v10, 0xbf27a4f4, v43, -v72
	v_dual_fmac_f32 v49, 0x3ed4b147, v40 :: v_dual_add_f32 v54, v91, v54
	s_delay_alu instid0(VALU_DEP_3) | instskip(NEXT) | instid1(VALU_DEP_2)
	v_add_f32_e32 v12, v53, v46
	v_dual_add_f32 v9, v81, v54 :: v_dual_fmac_f32 v80, 0x3f575c64, v35
	s_delay_alu instid0(VALU_DEP_2) | instskip(SKIP_4) | instid1(VALU_DEP_4)
	v_add_f32_e32 v11, v13, v12
	v_fma_f32 v12, 0xbf75a155, v35, -v45
	v_add_f32_e32 v4, v8, v4
	v_fma_f32 v13, 0x3f575c64, v36, -v90
	v_fmac_f32_e32 v45, 0xbf75a155, v35
	v_add_f32_e32 v8, v12, v11
	s_delay_alu instid0(VALU_DEP_4) | instskip(SKIP_2) | instid1(VALU_DEP_3)
	v_add_f32_e32 v4, v4, v6
	v_fma_f32 v6, 0x3f575c64, v41, -v65
	v_add_f32_e32 v12, v27, v50
	v_dual_fmac_f32 v89, 0xbf75a155, v38 :: v_dual_add_f32 v0, v4, v0
	s_delay_alu instid0(VALU_DEP_3)
	v_add_f32_e32 v3, v6, v5
	v_fma_f32 v4, 0xbf75a155, v39, -v61
	v_add_f32_e32 v5, v67, v7
	v_fma_f32 v6, 0xbf75a155, v43, -v70
	v_add_f32_e32 v0, v0, v2
	v_fmac_f32_e32 v74, 0x3ed4b147, v35
	v_fmac_f32_e32 v69, 0x3f575c64, v38
	v_fma_f32 v2, 0xbe11bafb, v44, -v68
	v_add_f32_e32 v3, v4, v3
	v_fma_f32 v4, 0x3ed4b147, v36, -v66
	v_add_f32_e32 v7, v27, v76
	s_delay_alu instid0(VALU_DEP_4) | instskip(NEXT) | instid1(VALU_DEP_3)
	v_dual_add_f32 v5, v69, v5 :: v_dual_add_f32 v2, v28, v2
	v_dual_add_f32 v12, v49, v12 :: v_dual_add_f32 v3, v4, v3
	s_delay_alu instid0(VALU_DEP_2) | instskip(NEXT) | instid1(VALU_DEP_3)
	v_dual_add_f32 v7, v78, v7 :: v_dual_add_f32 v4, v71, v5
	v_add_f32_e32 v5, v6, v2
	v_fma_f32 v6, 0x3ed4b147, v41, -v73
	s_delay_alu instid0(VALU_DEP_3) | instskip(NEXT) | instid1(VALU_DEP_4)
	v_add_f32_e32 v7, v82, v7
	v_add_f32_e32 v2, v74, v4
	v_fma_f32 v4, 0x3ed4b147, v44, -v79
	s_delay_alu instid0(VALU_DEP_4) | instskip(SKIP_1) | instid1(VALU_DEP_3)
	v_add_f32_e32 v5, v6, v5
	v_fma_f32 v6, 0x3f575c64, v39, -v75
	v_dual_add_f32 v4, v28, v4 :: v_dual_fmac_f32 v83, 0x3f575c64, v37
	s_delay_alu instid0(VALU_DEP_1) | instskip(NEXT) | instid1(VALU_DEP_3)
	v_add_f32_e32 v4, v10, v4
	v_add_f32_e32 v5, v6, v5
	v_fma_f32 v6, 0xbf27a4f4, v36, -v77
	v_fma_f32 v10, 0xbf75a155, v41, -v85
	s_delay_alu instid0(VALU_DEP_2) | instskip(SKIP_1) | instid1(VALU_DEP_3)
	v_dual_add_f32 v5, v6, v5 :: v_dual_add_f32 v6, v83, v7
	v_add_f32_e32 v11, v27, v88
	v_add_f32_e32 v7, v10, v4
	v_fma_f32 v10, 0xbe11bafb, v39, -v87
	s_delay_alu instid0(VALU_DEP_4) | instskip(SKIP_1) | instid1(VALU_DEP_3)
	v_add_f32_e32 v4, v86, v6
	v_fma_f32 v6, 0x3f575c64, v44, -v19
	v_add_f32_e32 v7, v10, v7
	v_add_f32_e32 v10, v84, v11
	v_fma_f32 v11, 0x3ed4b147, v43, -v17
	s_delay_alu instid0(VALU_DEP_4) | instskip(NEXT) | instid1(VALU_DEP_4)
	v_add_f32_e32 v6, v28, v6
	v_dual_fmac_f32 v48, 0xbe11bafb, v38 :: v_dual_add_f32 v7, v13, v7
	s_delay_alu instid0(VALU_DEP_4) | instskip(SKIP_1) | instid1(VALU_DEP_4)
	v_add_f32_e32 v10, v89, v10
	v_fma_f32 v17, 0xbf75a155, v36, -v18
	v_add_f32_e32 v6, v11, v6
	v_fma_f32 v11, 0xbe11bafb, v41, -v52
	v_add_f32_e32 v12, v48, v12
	s_delay_alu instid0(VALU_DEP_2) | instskip(SKIP_2) | instid1(VALU_DEP_4)
	v_add_f32_e32 v6, v11, v6
	v_fma_f32 v11, 0xbf27a4f4, v39, -v51
	v_fmac_f32_e32 v14, 0xbe11bafb, v37
	v_add_f32_e32 v12, v47, v12
	s_delay_alu instid0(VALU_DEP_3) | instskip(NEXT) | instid1(VALU_DEP_3)
	v_add_f32_e32 v11, v11, v6
	v_add_f32_e32 v10, v14, v10
	v_mul_u32_u24_e32 v14, 0x50, v24
	s_delay_alu instid0(VALU_DEP_2) | instskip(NEXT) | instid1(VALU_DEP_2)
	v_dual_add_f32 v11, v17, v11 :: v_dual_add_f32 v6, v80, v10
	v_add3_u32 v14, v34, v14, v33
	v_add_f32_e32 v10, v45, v12
	ds_store_2addr_b64 v14, v[0:1], v[8:9] offset1:1
	ds_store_2addr_b64 v14, v[15:16], v[59:60] offset0:2 offset1:3
	ds_store_2addr_b64 v14, v[57:58], v[55:56] offset0:4 offset1:5
	;; [unrolled: 1-line block ×4, first 2 shown]
	ds_store_b64 v14, v[10:11] offset:80
.LBB0_14:
	s_wait_alu 0xfffe
	s_or_b32 exec_lo, exec_lo, s1
	v_and_b32_e32 v0, 0xff, v24
	s_load_b64 s[2:3], s[2:3], 0x0
	global_wb scope:SCOPE_SE
	s_wait_dscnt 0x0
	s_wait_kmcnt 0x0
	s_barrier_signal -1
	s_barrier_wait -1
	v_mul_lo_u16 v0, 0x75, v0
	global_inv scope:SCOPE_SE
	v_cmp_gt_u32_e64 s0, 0x42, v24
	v_lshrrev_b16 v0, 8, v0
	s_delay_alu instid0(VALU_DEP_1) | instskip(NEXT) | instid1(VALU_DEP_1)
	v_sub_nc_u16 v1, v24, v0
	v_lshrrev_b16 v1, 1, v1
	s_delay_alu instid0(VALU_DEP_1) | instskip(NEXT) | instid1(VALU_DEP_1)
	v_and_b32_e32 v1, 0x7f, v1
	v_add_nc_u16 v0, v1, v0
	s_delay_alu instid0(VALU_DEP_1) | instskip(NEXT) | instid1(VALU_DEP_1)
	v_lshrrev_b16 v19, 3, v0
	v_mul_lo_u16 v0, v19, 11
	s_delay_alu instid0(VALU_DEP_1) | instskip(NEXT) | instid1(VALU_DEP_1)
	v_sub_nc_u16 v0, v24, v0
	v_and_b32_e32 v34, 0xff, v0
	s_delay_alu instid0(VALU_DEP_1) | instskip(NEXT) | instid1(VALU_DEP_1)
	v_mul_u32_u24_e32 v0, 5, v34
	v_lshlrev_b32_e32 v8, 3, v0
	s_clause 0x2
	global_load_b128 v[0:3], v8, s[8:9]
	global_load_b128 v[4:7], v8, s[8:9] offset:16
	global_load_b64 v[12:13], v8, s[8:9] offset:32
	v_add_nc_u32_e32 v14, 0x400, v32
	ds_load_2addr_b64 v[8:11], v32 offset0:77 offset1:154
	ds_load_2addr_b64 v[15:18], v14 offset0:103 offset1:180
	v_and_b32_e32 v19, 0xffff, v19
	ds_load_b64 v[27:28], v32 offset:3080
	v_lshlrev_b32_e32 v36, 3, v34
	ds_load_b64 v[34:35], v30
	global_wb scope:SCOPE_SE
	s_wait_loadcnt_dscnt 0x0
	s_barrier_signal -1
	s_barrier_wait -1
	global_inv scope:SCOPE_SE
	v_mul_f32_e32 v38, v7, v18
	v_mad_u32_u24 v19, 0x210, v19, 0
	v_mul_f32_e32 v7, v7, v17
	s_delay_alu instid0(VALU_DEP_2) | instskip(SKIP_3) | instid1(VALU_DEP_3)
	v_add3_u32 v19, v19, v36, v33
	v_mul_f32_e32 v33, v1, v9
	v_dual_mul_f32 v1, v1, v8 :: v_dual_mul_f32 v36, v3, v11
	v_mul_f32_e32 v3, v3, v10
	v_fma_f32 v8, v0, v8, -v33
	s_delay_alu instid0(VALU_DEP_3) | instskip(NEXT) | instid1(VALU_DEP_4)
	v_fmac_f32_e32 v1, v0, v9
	v_fma_f32 v0, v2, v10, -v36
	s_delay_alu instid0(VALU_DEP_4) | instskip(SKIP_2) | instid1(VALU_DEP_4)
	v_fmac_f32_e32 v3, v2, v11
	v_mul_f32_e32 v37, v5, v16
	v_mul_f32_e32 v5, v5, v15
	v_add_f32_e32 v9, v34, v0
	s_delay_alu instid0(VALU_DEP_3) | instskip(SKIP_1) | instid1(VALU_DEP_4)
	v_fma_f32 v2, v4, v15, -v37
	v_mul_f32_e32 v39, v13, v28
	v_fmac_f32_e32 v5, v4, v16
	v_fma_f32 v4, v6, v17, -v38
	v_fmac_f32_e32 v7, v6, v18
	v_mul_f32_e32 v13, v13, v27
	v_fma_f32 v6, v12, v27, -v39
	s_delay_alu instid0(VALU_DEP_4) | instskip(SKIP_2) | instid1(VALU_DEP_4)
	v_add_f32_e32 v10, v0, v4
	v_sub_f32_e32 v0, v0, v4
	v_add_f32_e32 v4, v9, v4
	v_add_f32_e32 v16, v2, v6
	;; [unrolled: 1-line block ×3, first 2 shown]
	v_sub_f32_e32 v2, v2, v6
	v_dual_add_f32 v18, v1, v5 :: v_dual_sub_f32 v11, v3, v7
	s_delay_alu instid0(VALU_DEP_4) | instskip(SKIP_3) | instid1(VALU_DEP_2)
	v_fmac_f32_e32 v8, -0.5, v16
	v_dual_fmac_f32 v13, v12, v28 :: v_dual_add_f32 v12, v35, v3
	v_add_f32_e32 v3, v3, v7
	v_fma_f32 v9, -0.5, v10, v34
	v_fmac_f32_e32 v35, -0.5, v3
	s_delay_alu instid0(VALU_DEP_4) | instskip(NEXT) | instid1(VALU_DEP_3)
	v_dual_add_f32 v3, v15, v6 :: v_dual_add_f32 v6, v18, v13
	v_dual_sub_f32 v17, v5, v13 :: v_dual_fmamk_f32 v10, v11, 0x3f5db3d7, v9
	v_add_f32_e32 v5, v5, v13
	s_delay_alu instid0(VALU_DEP_1) | instskip(NEXT) | instid1(VALU_DEP_3)
	v_fmac_f32_e32 v1, -0.5, v5
	v_fmamk_f32 v5, v17, 0x3f5db3d7, v8
	s_delay_alu instid0(VALU_DEP_2) | instskip(NEXT) | instid1(VALU_DEP_1)
	v_dual_fmac_f32 v8, 0xbf5db3d7, v17 :: v_dual_fmamk_f32 v15, v2, 0xbf5db3d7, v1
	v_dual_fmac_f32 v1, 0x3f5db3d7, v2 :: v_dual_mul_f32 v16, -0.5, v8
	v_add_f32_e32 v7, v12, v7
	s_delay_alu instid0(VALU_DEP_4) | instskip(NEXT) | instid1(VALU_DEP_3)
	v_mul_f32_e32 v17, 0xbf5db3d7, v5
	v_dual_mul_f32 v18, -0.5, v1 :: v_dual_fmac_f32 v9, 0xbf5db3d7, v11
	s_delay_alu instid0(VALU_DEP_3) | instskip(NEXT) | instid1(VALU_DEP_2)
	v_dual_fmac_f32 v16, 0x3f5db3d7, v1 :: v_dual_add_f32 v13, v7, v6
	v_dual_sub_f32 v1, v7, v6 :: v_dual_fmac_f32 v18, 0xbf5db3d7, v8
	v_add_f32_e32 v12, v4, v3
	s_delay_alu instid0(VALU_DEP_3) | instskip(SKIP_2) | instid1(VALU_DEP_2)
	v_add_f32_e32 v6, v9, v16
	v_mul_f32_e32 v2, 0x3f5db3d7, v15
	v_dual_fmac_f32 v17, 0.5, v15 :: v_dual_sub_f32 v8, v9, v16
	v_dual_fmac_f32 v2, 0.5, v5 :: v_dual_fmamk_f32 v11, v0, 0xbf5db3d7, v35
	v_dual_fmac_f32 v35, 0x3f5db3d7, v0 :: v_dual_sub_f32 v0, v4, v3
	s_delay_alu instid0(VALU_DEP_2) | instskip(NEXT) | instid1(VALU_DEP_3)
	v_add_f32_e32 v4, v10, v2
	v_dual_sub_f32 v2, v10, v2 :: v_dual_add_f32 v5, v11, v17
	s_delay_alu instid0(VALU_DEP_3)
	v_add_f32_e32 v7, v35, v18
	v_sub_f32_e32 v3, v11, v17
	v_sub_f32_e32 v9, v35, v18
	ds_store_2addr_b64 v19, v[12:13], v[4:5] offset1:11
	ds_store_2addr_b64 v19, v[6:7], v[0:1] offset0:22 offset1:33
	ds_store_2addr_b64 v19, v[2:3], v[8:9] offset0:44 offset1:55
	global_wb scope:SCOPE_SE
	s_wait_dscnt 0x0
	s_barrier_signal -1
	s_barrier_wait -1
	global_inv scope:SCOPE_SE
	s_and_saveexec_b32 s1, s0
	s_cbranch_execz .LBB0_16
; %bb.15:
	v_add_nc_u32_e32 v0, 0x800, v32
	ds_load_2addr_b64 v[8:11], v0 offset0:74 offset1:140
	ds_load_b64 v[12:13], v30
	ds_load_2addr_b64 v[4:7], v32 offset0:66 offset1:132
	ds_load_2addr_b64 v[0:3], v14 offset0:70 offset1:136
	s_wait_dscnt 0x3
	v_dual_mov_b32 v25, v10 :: v_dual_mov_b32 v26, v11
.LBB0_16:
	s_wait_alu 0xfffe
	s_or_b32 exec_lo, exec_lo, s1
	global_wb scope:SCOPE_SE
	s_wait_dscnt 0x0
	s_barrier_signal -1
	s_barrier_wait -1
	global_inv scope:SCOPE_SE
	s_and_saveexec_b32 s1, s0
	s_cbranch_execz .LBB0_18
; %bb.17:
	v_dual_mov_b32 v11, 0 :: v_dual_add_nc_u32 v10, 0xffffffbe, v24
	s_delay_alu instid0(VALU_DEP_1) | instskip(NEXT) | instid1(VALU_DEP_1)
	v_cndmask_b32_e64 v10, v10, v24, s0
	v_mul_i32_i24_e32 v10, 6, v10
	s_delay_alu instid0(VALU_DEP_1) | instskip(NEXT) | instid1(VALU_DEP_1)
	v_lshlrev_b64_e32 v[10:11], 3, v[10:11]
	v_add_co_u32 v10, s0, s8, v10
	s_wait_alu 0xf1ff
	s_delay_alu instid0(VALU_DEP_2)
	v_add_co_ci_u32_e64 v11, s0, s9, v11, s0
	s_clause 0x2
	global_load_b128 v[14:17], v[10:11], off offset:440
	global_load_b128 v[33:36], v[10:11], off offset:472
	;; [unrolled: 1-line block ×3, first 2 shown]
	v_add_nc_u32_e32 v19, 0x800, v32
	s_wait_loadcnt 0x2
	v_dual_mul_f32 v41, v7, v17 :: v_dual_add_nc_u32 v18, 0x400, v32
	s_wait_loadcnt 0x1
	v_dual_mul_f32 v10, v5, v15 :: v_dual_mul_f32 v11, v26, v36
	s_wait_loadcnt 0x0
	v_dual_mul_f32 v28, v1, v38 :: v_dual_mul_f32 v27, v3, v40
	v_mul_f32_e32 v42, v9, v34
	v_dual_mul_f32 v36, v25, v36 :: v_dual_mul_f32 v15, v4, v15
	v_dual_mul_f32 v38, v0, v38 :: v_dual_mul_f32 v17, v6, v17
	v_mul_f32_e32 v34, v8, v34
	v_fma_f32 v4, v4, v14, -v10
	v_fma_f32 v10, v25, v35, -v11
	v_dual_mul_f32 v40, v2, v40 :: v_dual_fmac_f32 v15, v5, v14
	v_fma_f32 v2, v2, v39, -v27
	v_fma_f32 v0, v0, v37, -v28
	;; [unrolled: 1-line block ×4, first 2 shown]
	v_fmac_f32_e32 v36, v26, v35
	v_dual_fmac_f32 v38, v1, v37 :: v_dual_fmac_f32 v17, v7, v16
	v_dual_sub_f32 v1, v4, v10 :: v_dual_fmac_f32 v34, v9, v33
	s_delay_alu instid0(VALU_DEP_3) | instskip(SKIP_2) | instid1(VALU_DEP_4)
	v_add_f32_e32 v7, v15, v36
	v_dual_fmac_f32 v40, v3, v39 :: v_dual_sub_f32 v5, v6, v8
	v_sub_f32_e32 v3, v2, v0
	v_add_f32_e32 v11, v17, v34
	s_delay_alu instid0(VALU_DEP_3)
	v_dual_add_f32 v4, v4, v10 :: v_dual_add_f32 v9, v38, v40
	v_add_f32_e32 v0, v0, v2
	v_add_f32_e32 v2, v6, v8
	v_sub_f32_e32 v6, v15, v36
	v_sub_f32_e32 v8, v40, v38
	v_dual_sub_f32 v10, v17, v34 :: v_dual_add_f32 v25, v11, v7
	v_dual_sub_f32 v15, v3, v5 :: v_dual_sub_f32 v14, v1, v3
	v_sub_f32_e32 v27, v0, v2
	v_add_f32_e32 v3, v3, v5
	v_dual_sub_f32 v17, v9, v11 :: v_dual_sub_f32 v16, v7, v9
	v_sub_f32_e32 v33, v6, v8
	v_dual_sub_f32 v26, v4, v0 :: v_dual_sub_f32 v5, v5, v1
	v_dual_add_f32 v28, v2, v4 :: v_dual_sub_f32 v7, v11, v7
	v_dual_sub_f32 v34, v8, v10 :: v_dual_add_f32 v3, v3, v1
	v_dual_add_f32 v8, v8, v10 :: v_dual_mul_f32 v11, 0x3f4a47b2, v16
	v_sub_f32_e32 v2, v2, v4
	v_dual_sub_f32 v4, v10, v6 :: v_dual_add_f32 v9, v9, v25
	v_mul_f32_e32 v10, 0xbf08b237, v15
	v_mul_f32_e32 v15, 0x3d64c772, v17
	;; [unrolled: 1-line block ×3, first 2 shown]
	v_fmamk_f32 v17, v17, 0x3d64c772, v11
	v_dual_add_f32 v1, v13, v9 :: v_dual_add_f32 v6, v8, v6
	v_fmamk_f32 v35, v14, 0x3eae86e6, v10
	v_fma_f32 v10, 0x3f5ff5aa, v5, -v10
	v_fma_f32 v11, 0xbf3bfb3b, v7, -v11
	;; [unrolled: 1-line block ×3, first 2 shown]
	s_delay_alu instid0(VALU_DEP_4) | instskip(SKIP_4) | instid1(VALU_DEP_4)
	v_fmac_f32_e32 v35, 0x3ee1c552, v3
	v_mul_f32_e32 v8, 0x3f5ff5aa, v5
	v_fmamk_f32 v5, v9, 0xbf955555, v1
	v_mul_f32_e32 v16, 0x3f4a47b2, v26
	v_add_f32_e32 v26, v0, v28
	v_fma_f32 v8, 0xbeae86e6, v14, -v8
	s_delay_alu instid0(VALU_DEP_2) | instskip(SKIP_3) | instid1(VALU_DEP_4)
	v_dual_add_f32 v11, v11, v5 :: v_dual_add_f32 v0, v12, v26
	v_add_f32_e32 v15, v17, v5
	v_fma_f32 v14, 0xbf3bfb3b, v2, -v16
	v_fma_f32 v2, 0x3f3bfb3b, v2, -v25
	v_fmamk_f32 v9, v26, 0xbf955555, v0
	v_fmamk_f32 v13, v27, 0x3d64c772, v16
	s_delay_alu instid0(VALU_DEP_2) | instskip(SKIP_1) | instid1(VALU_DEP_3)
	v_dual_fmac_f32 v8, 0x3ee1c552, v3 :: v_dual_add_f32 v25, v2, v9
	v_add_f32_e32 v14, v14, v9
	v_dual_mul_f32 v28, 0xbf08b237, v34 :: v_dual_add_f32 v17, v13, v9
	v_mul_f32_e32 v34, 0x3f5ff5aa, v4
	v_dual_fmac_f32 v10, 0x3ee1c552, v3 :: v_dual_add_f32 v13, v7, v5
	s_delay_alu instid0(VALU_DEP_3) | instskip(SKIP_1) | instid1(VALU_DEP_4)
	v_fmamk_f32 v12, v33, 0x3eae86e6, v28
	v_fma_f32 v4, 0x3f5ff5aa, v4, -v28
	v_fma_f32 v16, 0xbeae86e6, v33, -v34
	v_add_f32_e32 v5, v8, v11
	s_delay_alu instid0(VALU_DEP_4) | instskip(NEXT) | instid1(VALU_DEP_4)
	v_dual_sub_f32 v11, v11, v8 :: v_dual_fmac_f32 v12, 0x3ee1c552, v6
	v_dual_fmac_f32 v4, 0x3ee1c552, v6 :: v_dual_add_f32 v9, v10, v13
	s_delay_alu instid0(VALU_DEP_4) | instskip(SKIP_1) | instid1(VALU_DEP_4)
	v_fmac_f32_e32 v16, 0x3ee1c552, v6
	v_sub_f32_e32 v7, v13, v10
	v_sub_f32_e32 v2, v17, v12
	v_dual_add_f32 v12, v12, v17 :: v_dual_sub_f32 v13, v15, v35
	s_delay_alu instid0(VALU_DEP_4)
	v_add_f32_e32 v10, v16, v14
	v_add_f32_e32 v6, v4, v25
	v_dual_sub_f32 v8, v25, v4 :: v_dual_add_f32 v3, v35, v15
	v_sub_f32_e32 v4, v14, v16
	ds_store_b64 v30, v[0:1]
	ds_store_2addr_b64 v32, v[12:13], v[10:11] offset0:66 offset1:132
	ds_store_2addr_b64 v18, v[8:9], v[6:7] offset0:70 offset1:136
	;; [unrolled: 1-line block ×3, first 2 shown]
.LBB0_18:
	s_wait_alu 0xfffe
	s_or_b32 exec_lo, exec_lo, s1
	global_wb scope:SCOPE_SE
	s_wait_dscnt 0x0
	s_barrier_signal -1
	s_barrier_wait -1
	global_inv scope:SCOPE_SE
	ds_load_b64 v[2:3], v30
	v_sub_nc_u32_e32 v6, v29, v31
	s_mov_b32 s1, exec_lo
                                        ; implicit-def: $vgpr0
                                        ; implicit-def: $vgpr7
                                        ; implicit-def: $vgpr8
                                        ; implicit-def: $vgpr4_vgpr5
	v_cmpx_ne_u32_e32 0, v24
	s_wait_alu 0xfffe
	s_xor_b32 s1, exec_lo, s1
	s_cbranch_execz .LBB0_20
; %bb.19:
	ds_load_b64 v[4:5], v6 offset:3696
	s_wait_dscnt 0x0
	v_dual_mov_b32 v25, 0 :: v_dual_add_f32 v8, v5, v3
	s_delay_alu instid0(VALU_DEP_1) | instskip(SKIP_2) | instid1(VALU_DEP_2)
	v_lshlrev_b64_e32 v[0:1], 3, v[24:25]
	v_dual_sub_f32 v7, v2, v4 :: v_dual_add_f32 v2, v4, v2
	v_sub_f32_e32 v3, v3, v5
	v_mul_f32_e32 v5, 0.5, v7
	s_delay_alu instid0(VALU_DEP_4)
	v_add_co_u32 v0, s0, s8, v0
	s_wait_alu 0xf1ff
	v_add_co_ci_u32_e64 v1, s0, s9, v1, s0
	v_mul_f32_e32 v3, 0.5, v3
	global_load_b64 v[0:1], v[0:1], off offset:3608
	s_wait_loadcnt 0x0
	v_dual_mul_f32 v9, 0.5, v8 :: v_dual_mul_f32 v4, v1, v5
	s_delay_alu instid0(VALU_DEP_1) | instskip(SKIP_1) | instid1(VALU_DEP_3)
	v_fma_f32 v8, v9, v1, v3
	v_fma_f32 v1, v9, v1, -v3
	v_fma_f32 v7, 0.5, v2, v4
	v_fma_f32 v2, v2, 0.5, -v4
	s_delay_alu instid0(VALU_DEP_4) | instskip(NEXT) | instid1(VALU_DEP_4)
	v_fma_f32 v8, -v0, v5, v8
	v_fma_f32 v1, -v0, v5, v1
	v_mov_b32_e32 v4, v24
	v_fmac_f32_e32 v7, v0, v9
	v_fma_f32 v0, -v0, v9, v2
	v_mov_b32_e32 v5, v25
                                        ; implicit-def: $vgpr2_vgpr3
.LBB0_20:
	s_wait_alu 0xfffe
	s_and_not1_saveexec_b32 s0, s1
	s_cbranch_execz .LBB0_22
; %bb.21:
	ds_load_b32 v1, v29 offset:1852
	s_wait_dscnt 0x1
	v_dual_add_f32 v7, v2, v3 :: v_dual_mov_b32 v4, 0
	v_dual_sub_f32 v0, v2, v3 :: v_dual_mov_b32 v5, 0
	v_mov_b32_e32 v8, 0
	s_wait_dscnt 0x0
	v_xor_b32_e32 v2, 0x80000000, v1
	v_mov_b32_e32 v1, 0
	ds_store_b32 v29, v2 offset:1852
.LBB0_22:
	s_wait_alu 0xfffe
	s_or_b32 exec_lo, exec_lo, s0
	s_wait_dscnt 0x0
	v_lshlrev_b64_e32 v[2:3], 3, v[4:5]
	s_add_nc_u64 s[0:1], s[8:9], 0xe18
	s_wait_alu 0xfffe
	s_delay_alu instid0(VALU_DEP_1) | instskip(SKIP_1) | instid1(VALU_DEP_2)
	v_add_co_u32 v2, s0, s0, v2
	s_wait_alu 0xf1ff
	v_add_co_ci_u32_e64 v3, s0, s1, v3, s0
	s_clause 0x1
	global_load_b64 v[4:5], v[2:3], off offset:616
	global_load_b64 v[2:3], v[2:3], off offset:1232
	ds_store_2addr_b32 v30, v7, v8 offset1:1
	ds_store_b64 v6, v[0:1] offset:3696
	ds_load_b64 v[0:1], v30 offset:616
	ds_load_b64 v[7:8], v6 offset:3080
	s_wait_dscnt 0x0
	v_dual_sub_f32 v9, v0, v7 :: v_dual_add_f32 v10, v1, v8
	v_dual_sub_f32 v1, v1, v8 :: v_dual_add_f32 v0, v0, v7
	s_delay_alu instid0(VALU_DEP_2) | instskip(NEXT) | instid1(VALU_DEP_2)
	v_dual_mul_f32 v8, 0.5, v9 :: v_dual_mul_f32 v9, 0.5, v10
	v_mul_f32_e32 v1, 0.5, v1
	s_wait_loadcnt 0x1
	s_delay_alu instid0(VALU_DEP_2) | instskip(NEXT) | instid1(VALU_DEP_2)
	v_mul_f32_e32 v7, v5, v8
	v_fma_f32 v10, v9, v5, v1
	v_fma_f32 v1, v9, v5, -v1
	s_delay_alu instid0(VALU_DEP_3) | instskip(SKIP_1) | instid1(VALU_DEP_4)
	v_fma_f32 v5, 0.5, v0, v7
	v_fma_f32 v0, v0, 0.5, -v7
	v_fma_f32 v7, -v4, v8, v10
	s_delay_alu instid0(VALU_DEP_4) | instskip(NEXT) | instid1(VALU_DEP_4)
	v_fma_f32 v1, -v4, v8, v1
	v_fmac_f32_e32 v5, v4, v9
	s_delay_alu instid0(VALU_DEP_4)
	v_fma_f32 v0, -v4, v9, v0
	ds_store_2addr_b32 v30, v5, v7 offset0:154 offset1:155
	ds_store_b64 v6, v[0:1] offset:3080
	ds_load_b64 v[0:1], v30 offset:1232
	ds_load_b64 v[4:5], v6 offset:2464
	s_wait_dscnt 0x0
	v_dual_sub_f32 v7, v0, v4 :: v_dual_add_f32 v8, v1, v5
	v_dual_sub_f32 v1, v1, v5 :: v_dual_add_f32 v0, v0, v4
	s_delay_alu instid0(VALU_DEP_2) | instskip(NEXT) | instid1(VALU_DEP_3)
	v_mul_f32_e32 v5, 0.5, v7
	v_mul_f32_e32 v7, 0.5, v8
	s_delay_alu instid0(VALU_DEP_3) | instskip(SKIP_1) | instid1(VALU_DEP_3)
	v_mul_f32_e32 v1, 0.5, v1
	s_wait_loadcnt 0x0
	v_mul_f32_e32 v4, v3, v5
	s_delay_alu instid0(VALU_DEP_2) | instskip(SKIP_1) | instid1(VALU_DEP_3)
	v_fma_f32 v8, v7, v3, v1
	v_fma_f32 v1, v7, v3, -v1
	v_fma_f32 v3, 0.5, v0, v4
	v_fma_f32 v0, v0, 0.5, -v4
	v_add_nc_u32_e32 v4, 0x400, v30
	v_fma_f32 v8, -v2, v5, v8
	v_fma_f32 v1, -v2, v5, v1
	v_fmac_f32_e32 v3, v2, v7
	v_fma_f32 v0, -v2, v7, v0
	ds_store_2addr_b32 v4, v3, v8 offset0:52 offset1:53
	ds_store_b64 v6, v[0:1] offset:2464
	global_wb scope:SCOPE_SE
	s_wait_dscnt 0x0
	s_barrier_signal -1
	s_barrier_wait -1
	global_inv scope:SCOPE_SE
	s_and_saveexec_b32 s0, vcc_lo
	s_cbranch_execz .LBB0_25
; %bb.23:
	v_mul_lo_u32 v2, s3, v22
	v_mul_lo_u32 v3, s2, v23
	v_mad_co_u64_u32 v[0:1], null, s2, v22, 0
	v_dual_mov_b32 v25, 0 :: v_dual_add_nc_u32 v28, 0x181, v24
	v_lshlrev_b64_e32 v[7:8], 3, v[20:21]
	v_add_nc_u32_e32 v9, 0x4d, v24
	s_delay_alu instid0(VALU_DEP_3)
	v_dual_mov_b32 v12, v25 :: v_dual_add_nc_u32 v11, 0x9a, v24
	v_add3_u32 v1, v1, v3, v2
	v_lshlrev_b64_e32 v[13:14], 3, v[24:25]
	v_mov_b32_e32 v10, v25
	v_lshl_add_u32 v2, v24, 3, v29
	v_lshlrev_b64_e32 v[11:12], 3, v[11:12]
	v_lshlrev_b64_e32 v[0:1], 3, v[0:1]
	v_dual_mov_b32 v20, v25 :: v_dual_add_nc_u32 v19, 0x134, v24
	s_delay_alu instid0(VALU_DEP_4)
	v_add_nc_u32_e32 v23, 0x800, v2
	ds_load_2addr_b64 v[3:6], v2 offset1:77
	v_mov_b32_e32 v29, v25
	v_add_co_u32 v0, vcc_lo, s6, v0
	s_wait_alu 0xfffd
	v_add_co_ci_u32_e32 v1, vcc_lo, s7, v1, vcc_lo
	v_lshlrev_b64_e32 v[19:20], 3, v[19:20]
	s_delay_alu instid0(VALU_DEP_3) | instskip(SKIP_1) | instid1(VALU_DEP_3)
	v_add_co_u32 v0, vcc_lo, v0, v7
	s_wait_alu 0xfffd
	v_add_co_ci_u32_e32 v1, vcc_lo, v1, v8, vcc_lo
	v_lshlrev_b64_e32 v[7:8], 3, v[9:10]
	s_delay_alu instid0(VALU_DEP_3) | instskip(SKIP_1) | instid1(VALU_DEP_3)
	v_add_co_u32 v15, vcc_lo, v0, v13
	s_wait_alu 0xfffd
	v_add_co_ci_u32_e32 v16, vcc_lo, v1, v14, vcc_lo
	v_dual_mov_b32 v14, v25 :: v_dual_add_nc_u32 v13, 0xe7, v24
	s_delay_alu instid0(VALU_DEP_4) | instskip(SKIP_2) | instid1(VALU_DEP_3)
	v_add_co_u32 v17, vcc_lo, v0, v7
	s_wait_alu 0xfffd
	v_add_co_ci_u32_e32 v18, vcc_lo, v1, v8, vcc_lo
	v_lshlrev_b64_e32 v[26:27], 3, v[13:14]
	v_add_co_u32 v21, vcc_lo, v0, v11
	ds_load_2addr_b64 v[7:10], v2 offset0:154 offset1:231
	s_wait_alu 0xfffd
	v_add_co_ci_u32_e32 v22, vcc_lo, v1, v12, vcc_lo
	ds_load_2addr_b64 v[11:14], v23 offset0:52 offset1:129
	v_add_co_u32 v25, vcc_lo, v0, v26
	s_wait_alu 0xfffd
	v_add_co_ci_u32_e32 v26, vcc_lo, v1, v27, vcc_lo
	v_lshlrev_b64_e32 v[27:28], 3, v[28:29]
	v_add_co_u32 v19, vcc_lo, v0, v19
	s_wait_alu 0xfffd
	v_add_co_ci_u32_e32 v20, vcc_lo, v1, v20, vcc_lo
	s_delay_alu instid0(VALU_DEP_3)
	v_add_co_u32 v27, vcc_lo, v0, v27
	s_wait_alu 0xfffd
	v_add_co_ci_u32_e32 v28, vcc_lo, v1, v28, vcc_lo
	v_cmp_eq_u32_e32 vcc_lo, 0x4c, v24
	s_wait_dscnt 0x2
	s_clause 0x1
	global_store_b64 v[15:16], v[3:4], off
	global_store_b64 v[17:18], v[5:6], off
	s_wait_dscnt 0x1
	s_clause 0x1
	global_store_b64 v[21:22], v[7:8], off
	global_store_b64 v[25:26], v[9:10], off
	;; [unrolled: 4-line block ×3, first 2 shown]
	s_and_b32 exec_lo, exec_lo, vcc_lo
	s_cbranch_execz .LBB0_25
; %bb.24:
	ds_load_b64 v[2:3], v2 offset:3088
	s_wait_dscnt 0x0
	global_store_b64 v[0:1], v[2:3], off offset:3696
.LBB0_25:
	s_nop 0
	s_sendmsg sendmsg(MSG_DEALLOC_VGPRS)
	s_endpgm
	.section	.rodata,"a",@progbits
	.p2align	6, 0x0
	.amdhsa_kernel fft_rtc_fwd_len462_factors_11_6_7_wgs_231_tpt_77_sp_op_CI_CI_unitstride_sbrr_R2C_dirReg
		.amdhsa_group_segment_fixed_size 0
		.amdhsa_private_segment_fixed_size 0
		.amdhsa_kernarg_size 104
		.amdhsa_user_sgpr_count 2
		.amdhsa_user_sgpr_dispatch_ptr 0
		.amdhsa_user_sgpr_queue_ptr 0
		.amdhsa_user_sgpr_kernarg_segment_ptr 1
		.amdhsa_user_sgpr_dispatch_id 0
		.amdhsa_user_sgpr_private_segment_size 0
		.amdhsa_wavefront_size32 1
		.amdhsa_uses_dynamic_stack 0
		.amdhsa_enable_private_segment 0
		.amdhsa_system_sgpr_workgroup_id_x 1
		.amdhsa_system_sgpr_workgroup_id_y 0
		.amdhsa_system_sgpr_workgroup_id_z 0
		.amdhsa_system_sgpr_workgroup_info 0
		.amdhsa_system_vgpr_workitem_id 0
		.amdhsa_next_free_vgpr 92
		.amdhsa_next_free_sgpr 39
		.amdhsa_reserve_vcc 1
		.amdhsa_float_round_mode_32 0
		.amdhsa_float_round_mode_16_64 0
		.amdhsa_float_denorm_mode_32 3
		.amdhsa_float_denorm_mode_16_64 3
		.amdhsa_fp16_overflow 0
		.amdhsa_workgroup_processor_mode 1
		.amdhsa_memory_ordered 1
		.amdhsa_forward_progress 0
		.amdhsa_round_robin_scheduling 0
		.amdhsa_exception_fp_ieee_invalid_op 0
		.amdhsa_exception_fp_denorm_src 0
		.amdhsa_exception_fp_ieee_div_zero 0
		.amdhsa_exception_fp_ieee_overflow 0
		.amdhsa_exception_fp_ieee_underflow 0
		.amdhsa_exception_fp_ieee_inexact 0
		.amdhsa_exception_int_div_zero 0
	.end_amdhsa_kernel
	.text
.Lfunc_end0:
	.size	fft_rtc_fwd_len462_factors_11_6_7_wgs_231_tpt_77_sp_op_CI_CI_unitstride_sbrr_R2C_dirReg, .Lfunc_end0-fft_rtc_fwd_len462_factors_11_6_7_wgs_231_tpt_77_sp_op_CI_CI_unitstride_sbrr_R2C_dirReg
                                        ; -- End function
	.section	.AMDGPU.csdata,"",@progbits
; Kernel info:
; codeLenInByte = 7012
; NumSgprs: 41
; NumVgprs: 92
; ScratchSize: 0
; MemoryBound: 0
; FloatMode: 240
; IeeeMode: 1
; LDSByteSize: 0 bytes/workgroup (compile time only)
; SGPRBlocks: 5
; VGPRBlocks: 11
; NumSGPRsForWavesPerEU: 41
; NumVGPRsForWavesPerEU: 92
; Occupancy: 16
; WaveLimiterHint : 1
; COMPUTE_PGM_RSRC2:SCRATCH_EN: 0
; COMPUTE_PGM_RSRC2:USER_SGPR: 2
; COMPUTE_PGM_RSRC2:TRAP_HANDLER: 0
; COMPUTE_PGM_RSRC2:TGID_X_EN: 1
; COMPUTE_PGM_RSRC2:TGID_Y_EN: 0
; COMPUTE_PGM_RSRC2:TGID_Z_EN: 0
; COMPUTE_PGM_RSRC2:TIDIG_COMP_CNT: 0
	.text
	.p2alignl 7, 3214868480
	.fill 96, 4, 3214868480
	.type	__hip_cuid_2c393bf7e1b35951,@object ; @__hip_cuid_2c393bf7e1b35951
	.section	.bss,"aw",@nobits
	.globl	__hip_cuid_2c393bf7e1b35951
__hip_cuid_2c393bf7e1b35951:
	.byte	0                               ; 0x0
	.size	__hip_cuid_2c393bf7e1b35951, 1

	.ident	"AMD clang version 19.0.0git (https://github.com/RadeonOpenCompute/llvm-project roc-6.4.0 25133 c7fe45cf4b819c5991fe208aaa96edf142730f1d)"
	.section	".note.GNU-stack","",@progbits
	.addrsig
	.addrsig_sym __hip_cuid_2c393bf7e1b35951
	.amdgpu_metadata
---
amdhsa.kernels:
  - .args:
      - .actual_access:  read_only
        .address_space:  global
        .offset:         0
        .size:           8
        .value_kind:     global_buffer
      - .offset:         8
        .size:           8
        .value_kind:     by_value
      - .actual_access:  read_only
        .address_space:  global
        .offset:         16
        .size:           8
        .value_kind:     global_buffer
      - .actual_access:  read_only
        .address_space:  global
        .offset:         24
        .size:           8
        .value_kind:     global_buffer
      - .actual_access:  read_only
        .address_space:  global
        .offset:         32
        .size:           8
        .value_kind:     global_buffer
      - .offset:         40
        .size:           8
        .value_kind:     by_value
      - .actual_access:  read_only
        .address_space:  global
        .offset:         48
        .size:           8
        .value_kind:     global_buffer
      - .actual_access:  read_only
        .address_space:  global
        .offset:         56
        .size:           8
        .value_kind:     global_buffer
      - .offset:         64
        .size:           4
        .value_kind:     by_value
      - .actual_access:  read_only
        .address_space:  global
        .offset:         72
        .size:           8
        .value_kind:     global_buffer
      - .actual_access:  read_only
        .address_space:  global
        .offset:         80
        .size:           8
        .value_kind:     global_buffer
      - .actual_access:  read_only
        .address_space:  global
        .offset:         88
        .size:           8
        .value_kind:     global_buffer
      - .actual_access:  write_only
        .address_space:  global
        .offset:         96
        .size:           8
        .value_kind:     global_buffer
    .group_segment_fixed_size: 0
    .kernarg_segment_align: 8
    .kernarg_segment_size: 104
    .language:       OpenCL C
    .language_version:
      - 2
      - 0
    .max_flat_workgroup_size: 231
    .name:           fft_rtc_fwd_len462_factors_11_6_7_wgs_231_tpt_77_sp_op_CI_CI_unitstride_sbrr_R2C_dirReg
    .private_segment_fixed_size: 0
    .sgpr_count:     41
    .sgpr_spill_count: 0
    .symbol:         fft_rtc_fwd_len462_factors_11_6_7_wgs_231_tpt_77_sp_op_CI_CI_unitstride_sbrr_R2C_dirReg.kd
    .uniform_work_group_size: 1
    .uses_dynamic_stack: false
    .vgpr_count:     92
    .vgpr_spill_count: 0
    .wavefront_size: 32
    .workgroup_processor_mode: 1
amdhsa.target:   amdgcn-amd-amdhsa--gfx1201
amdhsa.version:
  - 1
  - 2
...

	.end_amdgpu_metadata
